;; amdgpu-corpus repo=ROCm/rocFFT kind=compiled arch=gfx1030 opt=O3
	.text
	.amdgcn_target "amdgcn-amd-amdhsa--gfx1030"
	.amdhsa_code_object_version 6
	.protected	fft_rtc_fwd_len1664_factors_13_2_2_4_2_2_2_wgs_208_tpt_208_halfLds_dp_ip_CI_unitstride_sbrr_R2C_dirReg ; -- Begin function fft_rtc_fwd_len1664_factors_13_2_2_4_2_2_2_wgs_208_tpt_208_halfLds_dp_ip_CI_unitstride_sbrr_R2C_dirReg
	.globl	fft_rtc_fwd_len1664_factors_13_2_2_4_2_2_2_wgs_208_tpt_208_halfLds_dp_ip_CI_unitstride_sbrr_R2C_dirReg
	.p2align	8
	.type	fft_rtc_fwd_len1664_factors_13_2_2_4_2_2_2_wgs_208_tpt_208_halfLds_dp_ip_CI_unitstride_sbrr_R2C_dirReg,@function
fft_rtc_fwd_len1664_factors_13_2_2_4_2_2_2_wgs_208_tpt_208_halfLds_dp_ip_CI_unitstride_sbrr_R2C_dirReg: ; @fft_rtc_fwd_len1664_factors_13_2_2_4_2_2_2_wgs_208_tpt_208_halfLds_dp_ip_CI_unitstride_sbrr_R2C_dirReg
; %bb.0:
	s_clause 0x2
	s_load_dwordx4 s[8:11], s[4:5], 0x0
	s_load_dwordx2 s[2:3], s[4:5], 0x50
	s_load_dwordx2 s[12:13], s[4:5], 0x18
	v_mul_u32_u24_e32 v1, 0x13c, v0
	v_mov_b32_e32 v3, 0
	v_add_nc_u32_sdwa v5, s6, v1 dst_sel:DWORD dst_unused:UNUSED_PAD src0_sel:DWORD src1_sel:WORD_1
	v_mov_b32_e32 v1, 0
	v_mov_b32_e32 v6, v3
	v_mov_b32_e32 v2, 0
	s_waitcnt lgkmcnt(0)
	v_cmp_lt_u64_e64 s0, s[10:11], 2
	s_and_b32 vcc_lo, exec_lo, s0
	s_cbranch_vccnz .LBB0_8
; %bb.1:
	s_load_dwordx2 s[0:1], s[4:5], 0x10
	v_mov_b32_e32 v1, 0
	s_add_u32 s6, s12, 8
	v_mov_b32_e32 v2, 0
	s_addc_u32 s7, s13, 0
	s_mov_b64 s[16:17], 1
	s_waitcnt lgkmcnt(0)
	s_add_u32 s14, s0, 8
	s_addc_u32 s15, s1, 0
.LBB0_2:                                ; =>This Inner Loop Header: Depth=1
	s_load_dwordx2 s[18:19], s[14:15], 0x0
                                        ; implicit-def: $vgpr7_vgpr8
	s_mov_b32 s0, exec_lo
	s_waitcnt lgkmcnt(0)
	v_or_b32_e32 v4, s19, v6
	v_cmpx_ne_u64_e32 0, v[3:4]
	s_xor_b32 s1, exec_lo, s0
	s_cbranch_execz .LBB0_4
; %bb.3:                                ;   in Loop: Header=BB0_2 Depth=1
	v_cvt_f32_u32_e32 v4, s18
	v_cvt_f32_u32_e32 v7, s19
	s_sub_u32 s0, 0, s18
	s_subb_u32 s20, 0, s19
	v_fmac_f32_e32 v4, 0x4f800000, v7
	v_rcp_f32_e32 v4, v4
	v_mul_f32_e32 v4, 0x5f7ffffc, v4
	v_mul_f32_e32 v7, 0x2f800000, v4
	v_trunc_f32_e32 v7, v7
	v_fmac_f32_e32 v4, 0xcf800000, v7
	v_cvt_u32_f32_e32 v7, v7
	v_cvt_u32_f32_e32 v4, v4
	v_mul_lo_u32 v8, s0, v7
	v_mul_hi_u32 v9, s0, v4
	v_mul_lo_u32 v10, s20, v4
	v_add_nc_u32_e32 v8, v9, v8
	v_mul_lo_u32 v9, s0, v4
	v_add_nc_u32_e32 v8, v8, v10
	v_mul_hi_u32 v10, v4, v9
	v_mul_lo_u32 v11, v4, v8
	v_mul_hi_u32 v12, v4, v8
	v_mul_hi_u32 v13, v7, v9
	v_mul_lo_u32 v9, v7, v9
	v_mul_hi_u32 v14, v7, v8
	v_mul_lo_u32 v8, v7, v8
	v_add_co_u32 v10, vcc_lo, v10, v11
	v_add_co_ci_u32_e32 v11, vcc_lo, 0, v12, vcc_lo
	v_add_co_u32 v9, vcc_lo, v10, v9
	v_add_co_ci_u32_e32 v9, vcc_lo, v11, v13, vcc_lo
	v_add_co_ci_u32_e32 v10, vcc_lo, 0, v14, vcc_lo
	v_add_co_u32 v8, vcc_lo, v9, v8
	v_add_co_ci_u32_e32 v9, vcc_lo, 0, v10, vcc_lo
	v_add_co_u32 v4, vcc_lo, v4, v8
	v_add_co_ci_u32_e32 v7, vcc_lo, v7, v9, vcc_lo
	v_mul_hi_u32 v8, s0, v4
	v_mul_lo_u32 v10, s20, v4
	v_mul_lo_u32 v9, s0, v7
	v_add_nc_u32_e32 v8, v8, v9
	v_mul_lo_u32 v9, s0, v4
	v_add_nc_u32_e32 v8, v8, v10
	v_mul_hi_u32 v10, v4, v9
	v_mul_lo_u32 v11, v4, v8
	v_mul_hi_u32 v12, v4, v8
	v_mul_hi_u32 v13, v7, v9
	v_mul_lo_u32 v9, v7, v9
	v_mul_hi_u32 v14, v7, v8
	v_mul_lo_u32 v8, v7, v8
	v_add_co_u32 v10, vcc_lo, v10, v11
	v_add_co_ci_u32_e32 v11, vcc_lo, 0, v12, vcc_lo
	v_add_co_u32 v9, vcc_lo, v10, v9
	v_add_co_ci_u32_e32 v9, vcc_lo, v11, v13, vcc_lo
	v_add_co_ci_u32_e32 v10, vcc_lo, 0, v14, vcc_lo
	v_add_co_u32 v8, vcc_lo, v9, v8
	v_add_co_ci_u32_e32 v9, vcc_lo, 0, v10, vcc_lo
	v_add_co_u32 v4, vcc_lo, v4, v8
	v_add_co_ci_u32_e32 v11, vcc_lo, v7, v9, vcc_lo
	v_mul_hi_u32 v13, v5, v4
	v_mad_u64_u32 v[9:10], null, v6, v4, 0
	v_mad_u64_u32 v[7:8], null, v5, v11, 0
	;; [unrolled: 1-line block ×3, first 2 shown]
	v_add_co_u32 v4, vcc_lo, v13, v7
	v_add_co_ci_u32_e32 v7, vcc_lo, 0, v8, vcc_lo
	v_add_co_u32 v4, vcc_lo, v4, v9
	v_add_co_ci_u32_e32 v4, vcc_lo, v7, v10, vcc_lo
	v_add_co_ci_u32_e32 v7, vcc_lo, 0, v12, vcc_lo
	v_add_co_u32 v4, vcc_lo, v4, v11
	v_add_co_ci_u32_e32 v9, vcc_lo, 0, v7, vcc_lo
	v_mul_lo_u32 v10, s19, v4
	v_mad_u64_u32 v[7:8], null, s18, v4, 0
	v_mul_lo_u32 v11, s18, v9
	v_sub_co_u32 v7, vcc_lo, v5, v7
	v_add3_u32 v8, v8, v11, v10
	v_sub_nc_u32_e32 v10, v6, v8
	v_subrev_co_ci_u32_e64 v10, s0, s19, v10, vcc_lo
	v_add_co_u32 v11, s0, v4, 2
	v_add_co_ci_u32_e64 v12, s0, 0, v9, s0
	v_sub_co_u32 v13, s0, v7, s18
	v_sub_co_ci_u32_e32 v8, vcc_lo, v6, v8, vcc_lo
	v_subrev_co_ci_u32_e64 v10, s0, 0, v10, s0
	v_cmp_le_u32_e32 vcc_lo, s18, v13
	v_cmp_eq_u32_e64 s0, s19, v8
	v_cndmask_b32_e64 v13, 0, -1, vcc_lo
	v_cmp_le_u32_e32 vcc_lo, s19, v10
	v_cndmask_b32_e64 v14, 0, -1, vcc_lo
	v_cmp_le_u32_e32 vcc_lo, s18, v7
	;; [unrolled: 2-line block ×3, first 2 shown]
	v_cndmask_b32_e64 v15, 0, -1, vcc_lo
	v_cmp_eq_u32_e32 vcc_lo, s19, v10
	v_cndmask_b32_e64 v7, v15, v7, s0
	v_cndmask_b32_e32 v10, v14, v13, vcc_lo
	v_add_co_u32 v13, vcc_lo, v4, 1
	v_add_co_ci_u32_e32 v14, vcc_lo, 0, v9, vcc_lo
	v_cmp_ne_u32_e32 vcc_lo, 0, v10
	v_cndmask_b32_e32 v8, v14, v12, vcc_lo
	v_cndmask_b32_e32 v10, v13, v11, vcc_lo
	v_cmp_ne_u32_e32 vcc_lo, 0, v7
	v_cndmask_b32_e32 v8, v9, v8, vcc_lo
	v_cndmask_b32_e32 v7, v4, v10, vcc_lo
.LBB0_4:                                ;   in Loop: Header=BB0_2 Depth=1
	s_andn2_saveexec_b32 s0, s1
	s_cbranch_execz .LBB0_6
; %bb.5:                                ;   in Loop: Header=BB0_2 Depth=1
	v_cvt_f32_u32_e32 v4, s18
	s_sub_i32 s1, 0, s18
	v_rcp_iflag_f32_e32 v4, v4
	v_mul_f32_e32 v4, 0x4f7ffffe, v4
	v_cvt_u32_f32_e32 v4, v4
	v_mul_lo_u32 v7, s1, v4
	v_mul_hi_u32 v7, v4, v7
	v_add_nc_u32_e32 v4, v4, v7
	v_mul_hi_u32 v4, v5, v4
	v_mul_lo_u32 v7, v4, s18
	v_add_nc_u32_e32 v8, 1, v4
	v_sub_nc_u32_e32 v7, v5, v7
	v_subrev_nc_u32_e32 v9, s18, v7
	v_cmp_le_u32_e32 vcc_lo, s18, v7
	v_cndmask_b32_e32 v7, v7, v9, vcc_lo
	v_cndmask_b32_e32 v4, v4, v8, vcc_lo
	v_cmp_le_u32_e32 vcc_lo, s18, v7
	v_add_nc_u32_e32 v8, 1, v4
	v_cndmask_b32_e32 v7, v4, v8, vcc_lo
	v_mov_b32_e32 v8, v3
.LBB0_6:                                ;   in Loop: Header=BB0_2 Depth=1
	s_or_b32 exec_lo, exec_lo, s0
	s_load_dwordx2 s[0:1], s[6:7], 0x0
	v_mul_lo_u32 v4, v8, s18
	v_mul_lo_u32 v11, v7, s19
	v_mad_u64_u32 v[9:10], null, v7, s18, 0
	s_add_u32 s16, s16, 1
	s_addc_u32 s17, s17, 0
	s_add_u32 s6, s6, 8
	s_addc_u32 s7, s7, 0
	;; [unrolled: 2-line block ×3, first 2 shown]
	v_add3_u32 v4, v10, v11, v4
	v_sub_co_u32 v5, vcc_lo, v5, v9
	v_sub_co_ci_u32_e32 v4, vcc_lo, v6, v4, vcc_lo
	s_waitcnt lgkmcnt(0)
	v_mul_lo_u32 v6, s1, v5
	v_mul_lo_u32 v4, s0, v4
	v_mad_u64_u32 v[1:2], null, s0, v5, v[1:2]
	v_cmp_ge_u64_e64 s0, s[16:17], s[10:11]
	s_and_b32 vcc_lo, exec_lo, s0
	v_add3_u32 v2, v6, v2, v4
	s_cbranch_vccnz .LBB0_9
; %bb.7:                                ;   in Loop: Header=BB0_2 Depth=1
	v_mov_b32_e32 v5, v7
	v_mov_b32_e32 v6, v8
	s_branch .LBB0_2
.LBB0_8:
	v_mov_b32_e32 v8, v6
	v_mov_b32_e32 v7, v5
.LBB0_9:
	s_lshl_b64 s[0:1], s[10:11], 3
	v_mul_hi_u32 v3, 0x13b13b2, v0
	s_add_u32 s0, s12, s0
	s_addc_u32 s1, s13, s1
	s_load_dwordx2 s[0:1], s[0:1], 0x0
	s_load_dwordx2 s[4:5], s[4:5], 0x20
	v_mul_u32_u24_e32 v3, 0xd0, v3
	v_sub_nc_u32_e32 v52, v0, v3
	v_lshl_add_u32 v68, v52, 4, 0
	s_waitcnt lgkmcnt(0)
	v_mul_lo_u32 v4, s0, v8
	v_mul_lo_u32 v5, s1, v7
	v_mad_u64_u32 v[1:2], null, s0, v7, v[1:2]
	v_cmp_gt_u64_e32 vcc_lo, s[4:5], v[7:8]
	v_add3_u32 v2, v5, v2, v4
	v_lshlrev_b64 v[54:55], 4, v[1:2]
	s_and_saveexec_b32 s1, vcc_lo
	s_cbranch_execz .LBB0_11
; %bb.10:
	v_mov_b32_e32 v53, 0
	v_add_co_u32 v2, s0, s2, v54
	v_add_co_ci_u32_e64 v3, s0, s3, v55, s0
	v_lshlrev_b64 v[0:1], 4, v[52:53]
	v_add_co_u32 v8, s0, v2, v0
	v_add_co_ci_u32_e64 v9, s0, v3, v1, s0
	v_add_co_u32 v4, s0, 0x800, v8
	v_add_co_ci_u32_e64 v5, s0, 0, v9, s0
	;; [unrolled: 2-line block ×8, first 2 shown]
	s_clause 0x7
	global_load_dwordx4 v[0:3], v[8:9], off
	global_load_dwordx4 v[4:7], v[4:5], off offset:1280
	global_load_dwordx4 v[8:11], v[10:11], off offset:512
	;; [unrolled: 1-line block ×7, first 2 shown]
	s_waitcnt vmcnt(7)
	ds_write_b128 v68, v[0:3]
	s_waitcnt vmcnt(6)
	ds_write_b128 v68, v[4:7] offset:3328
	s_waitcnt vmcnt(5)
	ds_write_b128 v68, v[8:11] offset:6656
	;; [unrolled: 2-line block ×7, first 2 shown]
.LBB0_11:
	s_or_b32 exec_lo, exec_lo, s1
	s_waitcnt lgkmcnt(0)
	s_barrier
	buffer_gl0_inv
	ds_read_b128 v[0:3], v68
	ds_read_b128 v[36:39], v68 offset:2048
	ds_read_b128 v[24:27], v68 offset:4096
	;; [unrolled: 1-line block ×12, first 2 shown]
	s_mov_b32 s33, exec_lo
	s_waitcnt lgkmcnt(0)
	s_barrier
	buffer_gl0_inv
	v_cmpx_gt_u32_e32 0x80, v52
	s_cbranch_execz .LBB0_13
; %bb.12:
	v_add_f64 v[56:57], v[2:3], v[38:39]
	v_add_f64 v[58:59], v[0:1], v[36:37]
	v_add_f64 v[69:70], v[38:39], v[6:7]
	v_add_f64 v[71:72], v[38:39], -v[6:7]
	s_mov_b32 s0, 0x93053d00
	s_mov_b32 s4, 0x4bc48dbf
	;; [unrolled: 1-line block ×6, first 2 shown]
	v_add_f64 v[38:39], v[48:49], v[44:45]
	v_add_f64 v[77:78], v[36:37], -v[4:5]
	v_add_f64 v[81:82], v[36:37], v[4:5]
	s_mov_b32 s10, 0xe00740e9
	s_mov_b32 s12, 0x4267c47c
	;; [unrolled: 1-line block ×6, first 2 shown]
	v_add_f64 v[60:61], v[42:43], v[30:31]
	v_add_f64 v[66:67], v[18:19], v[14:15]
	s_mov_b32 s16, 0xd0032e0c
	v_add_f64 v[56:57], v[56:57], v[26:27]
	v_add_f64 v[58:59], v[58:59], v[24:25]
	v_mul_f64 v[79:80], v[69:70], s[0:1]
	v_mul_f64 v[83:84], v[71:72], s[6:7]
	s_mov_b32 s18, 0x24c2f84
	s_mov_b32 s17, 0xbfe7f3cc
	;; [unrolled: 1-line block ×5, first 2 shown]
	v_add_f64 v[36:37], v[32:33], -v[20:21]
	s_mov_b32 s20, 0x1ea71119
	s_mov_b32 s26, 0x42a4c3d2
	;; [unrolled: 1-line block ×12, first 2 shown]
	v_add_f64 v[56:57], v[56:57], v[18:19]
	v_add_f64 v[58:59], v[58:59], v[16:17]
	s_mov_b32 s31, 0xbfedeba7
	v_fma_f64 v[87:88], v[81:82], s[0:1], v[83:84]
	s_mov_b32 s37, 0x3fbedb7d
	s_mov_b32 s41, 0xbfefc445
	;; [unrolled: 1-line block ×3, first 2 shown]
	v_mul_f64 v[93:94], v[69:70], s[28:29]
	v_mul_f64 v[101:102], v[69:70], s[36:37]
	;; [unrolled: 1-line block ×6, first 2 shown]
	s_mov_b32 s39, 0x3fefc445
	s_mov_b32 s38, s40
	v_fma_f64 v[83:84], v[81:82], s[0:1], -v[83:84]
	v_mad_u32_u24 v53, 0xc0, v52, v68
	v_add_f64 v[56:57], v[56:57], v[34:35]
	v_add_f64 v[58:59], v[58:59], v[32:33]
	;; [unrolled: 1-line block ×3, first 2 shown]
	v_fma_f64 v[119:120], v[77:78], s[38:39], v[101:102]
	v_fma_f64 v[121:122], v[81:82], s[36:37], v[103:104]
	;; [unrolled: 1-line block ×3, first 2 shown]
	v_fma_f64 v[103:104], v[81:82], s[36:37], -v[103:104]
	v_add_f64 v[83:84], v[0:1], v[83:84]
	v_add_f64 v[56:57], v[56:57], v[42:43]
	;; [unrolled: 1-line block ×3, first 2 shown]
	v_add_f64 v[42:43], v[42:43], -v[30:31]
	v_add_f64 v[119:120], v[2:3], v[119:120]
	v_add_f64 v[121:122], v[0:1], v[121:122]
	;; [unrolled: 1-line block ×6, first 2 shown]
	v_add_f64 v[56:57], v[48:49], -v[44:45]
	v_add_f64 v[48:49], v[40:41], -v[28:29]
	v_add_f64 v[40:41], v[40:41], v[28:29]
	v_add_f64 v[58:59], v[50:51], v[46:47]
	v_add_f64 v[50:51], v[50:51], -v[46:47]
	v_add_f64 v[73:74], v[62:63], v[46:47]
	v_add_f64 v[75:76], v[64:65], v[44:45]
	v_add_f64 v[62:63], v[26:27], v[10:11]
	v_add_f64 v[44:45], v[26:27], -v[10:11]
	v_add_f64 v[64:65], v[18:19], -v[14:15]
	v_add_f64 v[18:19], v[24:25], v[8:9]
	v_add_f64 v[46:47], v[34:35], v[22:23]
	v_add_f64 v[26:27], v[32:33], v[20:21]
	v_add_f64 v[34:35], v[34:35], -v[22:23]
	;; [unrolled: 5-line block ×3, first 2 shown]
	v_mul_f64 v[24:25], v[62:63], s[10:11]
	v_fma_f64 v[75:76], v[77:78], s[4:5], v[79:80]
	v_mul_f64 v[85:86], v[44:45], s[14:15]
	v_mul_f64 v[95:96], v[46:47], s[20:21]
	v_fma_f64 v[79:80], v[77:78], s[6:7], v[79:80]
	v_mul_f64 v[97:98], v[34:35], s[24:25]
	v_mul_f64 v[125:126], v[62:63], s[36:37]
	;; [unrolled: 1-line block ×3, first 2 shown]
	v_add_f64 v[22:23], v[30:31], v[22:23]
	v_add_f64 v[20:21], v[73:74], v[20:21]
	v_mul_f64 v[30:31], v[66:67], s[16:17]
	v_mul_f64 v[73:74], v[64:65], s[22:23]
	v_fma_f64 v[89:90], v[28:29], s[12:13], v[24:25]
	v_add_f64 v[75:76], v[2:3], v[75:76]
	v_fma_f64 v[91:92], v[18:19], s[10:11], v[85:86]
	v_fma_f64 v[115:116], v[36:37], s[26:27], v[95:96]
	v_add_f64 v[79:80], v[2:3], v[79:80]
	v_fma_f64 v[24:25], v[28:29], s[14:15], v[24:25]
	v_fma_f64 v[85:86], v[18:19], s[10:11], -v[85:86]
	v_fma_f64 v[95:96], v[36:37], s[24:25], v[95:96]
	v_add_f64 v[14:15], v[22:23], v[14:15]
	v_add_f64 v[12:13], v[20:21], v[12:13]
	v_fma_f64 v[99:100], v[32:33], s[18:19], v[30:31]
	v_mul_f64 v[20:21], v[69:70], s[16:17]
	v_mul_f64 v[22:23], v[71:72], s[22:23]
	v_add_f64 v[75:76], v[89:90], v[75:76]
	v_fma_f64 v[89:90], v[16:17], s[16:17], v[73:74]
	v_add_f64 v[87:88], v[91:92], v[87:88]
	v_mul_f64 v[91:92], v[71:72], s[30:31]
	v_mul_f64 v[69:70], v[69:70], s[10:11]
	;; [unrolled: 1-line block ×3, first 2 shown]
	v_add_f64 v[24:25], v[24:25], v[79:80]
	v_fma_f64 v[79:80], v[18:19], s[36:37], v[127:128]
	v_add_f64 v[83:84], v[85:86], v[83:84]
	v_mul_f64 v[85:86], v[44:45], s[18:19]
	v_fma_f64 v[30:31], v[32:33], s[22:23], v[30:31]
	v_fma_f64 v[73:74], v[16:17], s[16:17], -v[73:74]
	v_add_f64 v[10:11], v[14:15], v[10:11]
	v_add_f64 v[8:9], v[12:13], v[8:9]
	v_mul_f64 v[12:13], v[42:43], s[30:31]
	v_mul_f64 v[14:15], v[58:59], s[36:37]
	v_fma_f64 v[111:112], v[77:78], s[18:19], v[20:21]
	v_add_f64 v[75:76], v[99:100], v[75:76]
	v_fma_f64 v[99:100], v[26:27], s[20:21], v[97:98]
	v_add_f64 v[87:88], v[89:90], v[87:88]
	v_fma_f64 v[113:114], v[81:82], s[16:17], v[22:23]
	v_fma_f64 v[20:21], v[77:78], s[22:23], v[20:21]
	v_fma_f64 v[22:23], v[81:82], s[16:17], -v[22:23]
	v_fma_f64 v[89:90], v[77:78], s[34:35], v[93:94]
	v_fma_f64 v[117:118], v[81:82], s[28:29], v[91:92]
	;; [unrolled: 1-line block ×3, first 2 shown]
	v_fma_f64 v[91:92], v[81:82], s[28:29], -v[91:92]
	v_fma_f64 v[123:124], v[77:78], s[14:15], v[69:70]
	v_fma_f64 v[69:70], v[77:78], s[12:13], v[69:70]
	v_add_f64 v[24:25], v[30:31], v[24:25]
	v_add_f64 v[73:74], v[73:74], v[83:84]
	v_mul_f64 v[83:84], v[64:65], s[14:15]
	v_fma_f64 v[97:98], v[26:27], s[20:21], -v[97:98]
	v_add_f64 v[6:7], v[10:11], v[6:7]
	v_add_f64 v[4:5], v[8:9], v[4:5]
	v_fma_f64 v[8:9], v[77:78], s[24:25], v[105:106]
	v_fma_f64 v[10:11], v[81:82], s[20:21], v[107:108]
	;; [unrolled: 1-line block ×3, first 2 shown]
	v_fma_f64 v[107:108], v[81:82], s[20:21], -v[107:108]
	v_fma_f64 v[77:78], v[81:82], s[10:11], v[71:72]
	v_fma_f64 v[71:72], v[81:82], s[10:11], -v[71:72]
	v_fma_f64 v[81:82], v[48:49], s[34:35], v[109:110]
	v_add_f64 v[75:76], v[115:116], v[75:76]
	v_fma_f64 v[115:116], v[40:41], s[28:29], v[12:13]
	v_add_f64 v[87:88], v[99:100], v[87:88]
	v_mul_f64 v[99:100], v[50:51], s[38:39]
	v_add_f64 v[111:112], v[2:3], v[111:112]
	v_add_f64 v[113:114], v[0:1], v[113:114]
	;; [unrolled: 1-line block ×17, first 2 shown]
	v_mul_f64 v[95:96], v[60:61], s[10:11]
	v_add_f64 v[75:76], v[81:82], v[75:76]
	v_fma_f64 v[81:82], v[56:57], s[40:41], v[14:15]
	v_add_f64 v[87:88], v[115:116], v[87:88]
	v_fma_f64 v[115:116], v[38:39], s[36:37], v[99:100]
	v_add_f64 v[73:74], v[97:98], v[73:74]
	v_add_f64 v[79:80], v[79:80], v[113:114]
	v_mul_f64 v[97:98], v[42:43], s[14:15]
	v_fma_f64 v[109:110], v[48:49], s[30:31], v[109:110]
	v_fma_f64 v[12:13], v[40:41], s[28:29], -v[12:13]
	v_fma_f64 v[14:15], v[56:57], s[38:39], v[14:15]
	v_add_f64 v[2:3], v[81:82], v[75:76]
	v_mul_f64 v[75:76], v[62:63], s[16:17]
	v_add_f64 v[0:1], v[115:116], v[87:88]
	v_fma_f64 v[81:82], v[28:29], s[40:41], v[125:126]
	v_fma_f64 v[87:88], v[28:29], s[38:39], v[125:126]
	v_fma_f64 v[115:116], v[18:19], s[36:37], -v[127:128]
	v_add_f64 v[24:25], v[109:110], v[24:25]
	v_add_f64 v[12:13], v[12:13], v[73:74]
	v_fma_f64 v[113:114], v[28:29], s[22:23], v[75:76]
	v_fma_f64 v[75:76], v[28:29], s[18:19], v[75:76]
	v_add_f64 v[81:82], v[81:82], v[111:112]
	v_mul_f64 v[111:112], v[66:67], s[20:21]
	v_add_f64 v[20:21], v[87:88], v[20:21]
	v_fma_f64 v[87:88], v[18:19], s[16:17], v[85:86]
	v_add_f64 v[22:23], v[115:116], v[22:23]
	v_mul_f64 v[115:116], v[64:65], s[26:27]
	v_fma_f64 v[85:86], v[18:19], s[16:17], -v[85:86]
	v_add_f64 v[89:90], v[113:114], v[89:90]
	v_mul_f64 v[113:114], v[66:67], s[10:11]
	v_add_f64 v[75:76], v[75:76], v[93:94]
	v_mul_f64 v[93:94], v[44:45], s[6:7]
	v_add_f64 v[87:88], v[87:88], v[117:118]
	v_fma_f64 v[117:118], v[32:33], s[24:25], v[111:112]
	v_fma_f64 v[30:31], v[16:17], s[20:21], v[115:116]
	;; [unrolled: 1-line block ×3, first 2 shown]
	v_fma_f64 v[115:116], v[16:17], s[20:21], -v[115:116]
	v_add_f64 v[85:86], v[85:86], v[91:92]
	v_add_f64 v[81:82], v[117:118], v[81:82]
	v_mul_f64 v[117:118], v[46:47], s[0:1]
	v_add_f64 v[30:31], v[30:31], v[79:80]
	v_fma_f64 v[79:80], v[32:33], s[12:13], v[113:114]
	v_add_f64 v[20:21], v[111:112], v[20:21]
	v_fma_f64 v[111:112], v[16:17], s[10:11], v[83:84]
	v_add_f64 v[22:23], v[115:116], v[22:23]
	v_mul_f64 v[115:116], v[34:35], s[4:5]
	v_fma_f64 v[113:114], v[32:33], s[14:15], v[113:114]
	v_fma_f64 v[83:84], v[16:17], s[10:11], -v[83:84]
	v_add_f64 v[79:80], v[79:80], v[89:90]
	v_fma_f64 v[89:90], v[36:37], s[6:7], v[117:118]
	v_add_f64 v[87:88], v[111:112], v[87:88]
	v_fma_f64 v[117:118], v[36:37], s[4:5], v[117:118]
	v_fma_f64 v[111:112], v[26:27], s[0:1], v[115:116]
	v_fma_f64 v[115:116], v[26:27], s[0:1], -v[115:116]
	v_add_f64 v[75:76], v[113:114], v[75:76]
	v_mul_f64 v[113:114], v[64:65], s[34:35]
	v_add_f64 v[83:84], v[83:84], v[85:86]
	v_add_f64 v[81:82], v[89:90], v[81:82]
	v_mul_f64 v[89:90], v[46:47], s[36:37]
	v_add_f64 v[20:21], v[117:118], v[20:21]
	v_add_f64 v[30:31], v[111:112], v[30:31]
	v_mul_f64 v[111:112], v[34:35], s[40:41]
	v_fma_f64 v[117:118], v[48:49], s[12:13], v[95:96]
	v_add_f64 v[22:23], v[115:116], v[22:23]
	v_fma_f64 v[115:116], v[40:41], s[10:11], v[97:98]
	v_fma_f64 v[95:96], v[48:49], s[14:15], v[95:96]
	;; [unrolled: 1-line block ×5, first 2 shown]
	v_add_f64 v[81:82], v[117:118], v[81:82]
	v_mul_f64 v[117:118], v[60:61], s[0:1]
	v_add_f64 v[30:31], v[115:116], v[30:31]
	v_mul_f64 v[115:116], v[42:43], s[4:5]
	v_add_f64 v[20:21], v[95:96], v[20:21]
	v_fma_f64 v[95:96], v[40:41], s[10:11], -v[97:98]
	v_mul_f64 v[97:98], v[62:63], s[0:1]
	v_fma_f64 v[85:86], v[26:27], s[36:37], -v[111:112]
	v_mul_f64 v[111:112], v[66:67], s[0:1]
	v_add_f64 v[79:80], v[109:110], v[79:80]
	v_add_f64 v[75:76], v[89:90], v[75:76]
	v_mul_f64 v[89:90], v[44:45], s[30:31]
	v_add_f64 v[73:74], v[73:74], v[87:88]
	v_mul_f64 v[44:45], v[44:45], s[26:27]
	v_fma_f64 v[87:88], v[48:49], s[6:7], v[117:118]
	v_fma_f64 v[117:118], v[48:49], s[4:5], v[117:118]
	;; [unrolled: 1-line block ×3, first 2 shown]
	v_fma_f64 v[115:116], v[40:41], s[0:1], -v[115:116]
	v_add_f64 v[22:23], v[95:96], v[22:23]
	v_mul_f64 v[95:96], v[66:67], s[28:29]
	v_add_f64 v[83:84], v[85:86], v[83:84]
	v_fma_f64 v[85:86], v[32:33], s[4:5], v[111:112]
	v_mul_f64 v[66:67], v[66:67], s[36:37]
	v_fma_f64 v[111:112], v[32:33], s[6:7], v[111:112]
	v_add_f64 v[79:80], v[87:88], v[79:80]
	v_fma_f64 v[87:88], v[28:29], s[4:5], v[97:98]
	v_add_f64 v[73:74], v[109:110], v[73:74]
	v_fma_f64 v[109:110], v[18:19], s[0:1], v[93:94]
	v_fma_f64 v[97:98], v[28:29], s[6:7], v[97:98]
	v_fma_f64 v[93:94], v[18:19], s[0:1], -v[93:94]
	v_fma_f64 v[91:92], v[32:33], s[30:31], v[95:96]
	v_fma_f64 v[95:96], v[32:33], s[34:35], v[95:96]
	v_add_f64 v[75:76], v[117:118], v[75:76]
	v_mul_f64 v[117:118], v[64:65], s[6:7]
	v_mul_f64 v[64:65], v[64:65], s[40:41]
	v_add_f64 v[83:84], v[115:116], v[83:84]
	v_add_f64 v[87:88], v[87:88], v[119:120]
	v_mul_f64 v[119:120], v[46:47], s[10:11]
	v_add_f64 v[109:110], v[109:110], v[121:122]
	v_mul_f64 v[121:122], v[62:63], s[28:29]
	v_add_f64 v[97:98], v[97:98], v[101:102]
	v_fma_f64 v[101:102], v[16:17], s[28:29], v[113:114]
	v_add_f64 v[93:94], v[93:94], v[103:104]
	v_mul_f64 v[103:104], v[34:35], s[14:15]
	v_fma_f64 v[113:114], v[16:17], s[28:29], -v[113:114]
	v_mul_f64 v[62:63], v[62:63], s[20:21]
	v_add_f64 v[87:88], v[91:92], v[87:88]
	v_fma_f64 v[91:92], v[28:29], s[34:35], v[121:122]
	v_add_f64 v[95:96], v[95:96], v[97:98]
	v_add_f64 v[101:102], v[101:102], v[109:110]
	v_fma_f64 v[109:110], v[36:37], s[12:13], v[119:120]
	v_fma_f64 v[97:98], v[26:27], s[10:11], v[103:104]
	v_add_f64 v[93:94], v[113:114], v[93:94]
	v_fma_f64 v[103:104], v[26:27], s[10:11], -v[103:104]
	v_fma_f64 v[121:122], v[28:29], s[30:31], v[121:122]
	v_fma_f64 v[119:120], v[36:37], s[14:15], v[119:120]
	;; [unrolled: 1-line block ×3, first 2 shown]
	v_fma_f64 v[89:90], v[18:19], s[28:29], -v[89:90]
	v_add_f64 v[8:9], v[91:92], v[8:9]
	v_mul_f64 v[91:92], v[60:61], s[20:21]
	v_add_f64 v[87:88], v[109:110], v[87:88]
	v_mul_f64 v[109:110], v[42:43], s[26:27]
	;; [unrolled: 2-line block ×3, first 2 shown]
	v_add_f64 v[93:94], v[103:104], v[93:94]
	v_fma_f64 v[103:104], v[28:29], s[26:27], v[62:63]
	v_add_f64 v[105:106], v[121:122], v[105:106]
	v_fma_f64 v[121:122], v[18:19], s[20:21], -v[44:45]
	v_add_f64 v[95:96], v[119:120], v[95:96]
	v_add_f64 v[10:11], v[113:114], v[10:11]
	v_fma_f64 v[113:114], v[16:17], s[0:1], v[117:118]
	v_mul_f64 v[119:120], v[34:35], s[18:19]
	v_fma_f64 v[28:29], v[28:29], s[24:25], v[62:63]
	v_fma_f64 v[18:19], v[18:19], s[20:21], v[44:45]
	v_add_f64 v[89:90], v[89:90], v[107:108]
	v_mul_f64 v[44:45], v[60:61], s[36:37]
	v_fma_f64 v[117:118], v[16:17], s[0:1], -v[117:118]
	v_mul_f64 v[46:47], v[46:47], s[28:29]
	v_mul_f64 v[34:35], v[34:35], s[30:31]
	v_add_f64 v[8:9], v[85:86], v[8:9]
	v_fma_f64 v[85:86], v[48:49], s[24:25], v[91:92]
	v_fma_f64 v[91:92], v[48:49], s[26:27], v[91:92]
	v_mul_f64 v[60:61], v[60:61], s[16:17]
	v_fma_f64 v[62:63], v[40:41], s[20:21], v[109:110]
	v_fma_f64 v[109:110], v[40:41], s[20:21], -v[109:110]
	v_fma_f64 v[107:108], v[36:37], s[22:23], v[101:102]
	v_fma_f64 v[101:102], v[36:37], s[18:19], v[101:102]
	v_add_f64 v[69:70], v[103:104], v[69:70]
	v_fma_f64 v[103:104], v[32:33], s[40:41], v[66:67]
	v_add_f64 v[71:72], v[121:122], v[71:72]
	v_fma_f64 v[121:122], v[16:17], s[36:37], -v[64:65]
	v_add_f64 v[105:106], v[111:112], v[105:106]
	v_add_f64 v[10:11], v[113:114], v[10:11]
	v_fma_f64 v[113:114], v[26:27], s[16:17], v[119:120]
	v_mul_f64 v[111:112], v[42:43], s[38:39]
	v_fma_f64 v[32:33], v[32:33], s[38:39], v[66:67]
	v_add_f64 v[28:29], v[28:29], v[123:124]
	v_fma_f64 v[16:17], v[16:17], s[36:37], v[64:65]
	v_add_f64 v[18:19], v[18:19], v[77:78]
	v_add_f64 v[89:90], v[117:118], v[89:90]
	v_fma_f64 v[64:65], v[26:27], s[16:17], -v[119:120]
	v_fma_f64 v[77:78], v[36:37], s[30:31], v[46:47]
	v_add_f64 v[85:86], v[85:86], v[87:88]
	v_add_f64 v[66:67], v[91:92], v[95:96]
	v_fma_f64 v[87:88], v[48:49], s[40:41], v[44:45]
	v_mul_f64 v[42:43], v[42:43], s[22:23]
	v_add_f64 v[91:92], v[109:110], v[93:94]
	v_add_f64 v[8:9], v[107:108], v[8:9]
	v_fma_f64 v[93:94], v[26:27], s[28:29], -v[34:35]
	v_add_f64 v[62:63], v[62:63], v[97:98]
	v_add_f64 v[69:70], v[103:104], v[69:70]
	v_fma_f64 v[36:37], v[36:37], s[34:35], v[46:47]
	v_add_f64 v[71:72], v[121:122], v[71:72]
	v_fma_f64 v[26:27], v[26:27], s[28:29], v[34:35]
	v_add_f64 v[95:96], v[101:102], v[105:106]
	v_add_f64 v[10:11], v[113:114], v[10:11]
	v_fma_f64 v[97:98], v[40:41], s[36:37], v[111:112]
	v_mul_f64 v[101:102], v[58:59], s[28:29]
	v_add_f64 v[28:29], v[32:33], v[28:29]
	v_mul_f64 v[32:33], v[50:51], s[30:31]
	v_add_f64 v[16:17], v[16:17], v[18:19]
	v_fma_f64 v[46:47], v[38:39], s[36:37], -v[99:100]
	v_add_f64 v[18:19], v[64:65], v[89:90]
	v_fma_f64 v[34:35], v[40:41], s[36:37], -v[111:112]
	v_mul_f64 v[89:90], v[58:59], s[16:17]
	v_mul_f64 v[99:100], v[58:59], s[10:11]
	;; [unrolled: 1-line block ×3, first 2 shown]
	v_fma_f64 v[44:45], v[48:49], s[38:39], v[44:45]
	v_mul_f64 v[105:106], v[50:51], s[14:15]
	v_add_f64 v[87:88], v[87:88], v[8:9]
	v_mul_f64 v[8:9], v[58:59], s[20:21]
	v_mul_f64 v[58:59], v[58:59], s[0:1]
	v_add_f64 v[64:65], v[77:78], v[69:70]
	v_fma_f64 v[69:70], v[48:49], s[22:23], v[60:61]
	v_add_f64 v[71:72], v[93:94], v[71:72]
	v_fma_f64 v[93:94], v[40:41], s[16:17], -v[42:43]
	v_mul_f64 v[77:78], v[50:51], s[24:25]
	v_mul_f64 v[50:51], v[50:51], s[22:23]
	v_add_f64 v[97:98], v[97:98], v[10:11]
	v_fma_f64 v[10:11], v[48:49], s[18:19], v[60:61]
	v_add_f64 v[28:29], v[36:37], v[28:29]
	v_fma_f64 v[40:41], v[40:41], s[16:17], v[42:43]
	;; [unrolled: 2-line block ×3, first 2 shown]
	v_fma_f64 v[48:49], v[38:39], s[28:29], v[32:33]
	v_fma_f64 v[36:37], v[56:57], s[30:31], v[101:102]
	v_fma_f64 v[26:27], v[38:39], s[28:29], -v[32:33]
	v_add_f64 v[42:43], v[34:35], v[18:19]
	v_fma_f64 v[101:102], v[38:39], s[0:1], -v[103:104]
	v_add_f64 v[44:45], v[44:45], v[95:96]
	v_fma_f64 v[95:96], v[56:57], s[14:15], v[99:100]
	v_fma_f64 v[109:110], v[38:39], s[10:11], -v[105:106]
	v_fma_f64 v[34:35], v[56:57], s[24:25], v[8:9]
	v_fma_f64 v[60:61], v[56:57], s[26:27], v[8:9]
	;; [unrolled: 1-line block ×3, first 2 shown]
	v_add_f64 v[32:33], v[69:70], v[64:65]
	v_fma_f64 v[69:70], v[56:57], s[22:23], v[89:90]
	v_add_f64 v[71:72], v[93:94], v[71:72]
	v_fma_f64 v[93:94], v[56:57], s[6:7], v[58:59]
	v_fma_f64 v[111:112], v[38:39], s[16:17], -v[50:51]
	v_fma_f64 v[64:65], v[38:39], s[20:21], v[77:78]
	v_fma_f64 v[77:78], v[38:39], s[20:21], -v[77:78]
	v_fma_f64 v[89:90], v[56:57], s[18:19], v[89:90]
	v_fma_f64 v[50:51], v[38:39], s[16:17], v[50:51]
	;; [unrolled: 1-line block ×4, first 2 shown]
	v_add_f64 v[58:59], v[10:11], v[28:29]
	v_fma_f64 v[103:104], v[38:39], s[0:1], v[103:104]
	v_add_f64 v[113:114], v[40:41], v[16:17]
	v_add_f64 v[16:17], v[26:27], v[22:23]
	;; [unrolled: 1-line block ×23, first 2 shown]
	ds_write_b128 v53, v[4:7]
	ds_write_b128 v53, v[32:35] offset:16
	ds_write_b128 v53, v[28:31] offset:32
	;; [unrolled: 1-line block ×12, first 2 shown]
.LBB0_13:
	s_or_b32 exec_lo, exec_lo, s33
	v_and_b32_e32 v0, 0xff, v52
	v_add_nc_u32_e32 v9, 0xd0, v52
	v_mov_b32_e32 v1, 0x4ec5
	v_add_nc_u32_e32 v11, 0x1a0, v52
	v_add_nc_u32_e32 v8, 0x270, v52
	v_mul_lo_u16 v4, 0x4f, v0
	v_mov_b32_e32 v0, 4
	v_mul_u32_u24_sdwa v3, v9, v1 dst_sel:DWORD dst_unused:UNUSED_PAD src0_sel:WORD_0 src1_sel:DWORD
	v_mul_u32_u24_sdwa v2, v11, v1 dst_sel:DWORD dst_unused:UNUSED_PAD src0_sel:WORD_0 src1_sel:DWORD
	;; [unrolled: 1-line block ×3, first 2 shown]
	v_lshrrev_b16 v7, 10, v4
	s_waitcnt lgkmcnt(0)
	v_lshrrev_b32_e32 v10, 18, v3
	v_lshrrev_b32_e32 v53, 18, v2
	;; [unrolled: 1-line block ×3, first 2 shown]
	v_mul_lo_u16 v5, v7, 13
	s_barrier
	v_mul_lo_u16 v6, v10, 13
	v_mul_lo_u16 v12, v53, 13
	;; [unrolled: 1-line block ×3, first 2 shown]
	v_sub_nc_u16 v5, v52, v5
	buffer_gl0_inv
	v_sub_nc_u16 v6, v9, v6
	v_sub_nc_u16 v12, v11, v12
	v_lshrrev_b16 v67, 11, v4
	v_lshlrev_b32_sdwa v63, v0, v5 dst_sel:DWORD dst_unused:UNUSED_PAD src0_sel:DWORD src1_sel:BYTE_0
	v_sub_nc_u16 v5, v8, v13
	v_lshlrev_b32_sdwa v64, v0, v6 dst_sel:DWORD dst_unused:UNUSED_PAD src0_sel:DWORD src1_sel:WORD_0
	v_lshlrev_b32_sdwa v65, v0, v12 dst_sel:DWORD dst_unused:UNUSED_PAD src0_sel:DWORD src1_sel:WORD_0
	v_lshrrev_b32_e32 v69, 19, v3
	global_load_dwordx4 v[12:15], v63, s[8:9]
	v_lshlrev_b32_sdwa v66, v0, v5 dst_sel:DWORD dst_unused:UNUSED_PAD src0_sel:DWORD src1_sel:WORD_0
	v_lshrrev_b32_e32 v70, 19, v2
	s_clause 0x2
	global_load_dwordx4 v[16:19], v64, s[8:9]
	global_load_dwordx4 v[20:23], v65, s[8:9]
	;; [unrolled: 1-line block ×3, first 2 shown]
	ds_read_b128 v[28:31], v68 offset:13312
	ds_read_b128 v[32:35], v68 offset:16640
	;; [unrolled: 1-line block ×4, first 2 shown]
	ds_read_b128 v[44:47], v68
	ds_read_b128 v[48:51], v68 offset:3328
	v_lshrrev_b32_e32 v71, 19, v1
	v_lshrrev_b16 v81, 12, v4
	v_lshrrev_b32_e32 v82, 20, v3
	v_lshrrev_b32_e32 v2, 22, v2
	v_lshrrev_b32_e32 v1, 22, v1
	s_add_u32 s1, s8, 0x6730
	s_addc_u32 s4, s9, 0
	s_mov_b32 s5, exec_lo
	s_waitcnt vmcnt(3) lgkmcnt(5)
	v_mul_f64 v[5:6], v[30:31], v[14:15]
	v_mul_f64 v[14:15], v[28:29], v[14:15]
	s_waitcnt vmcnt(2) lgkmcnt(4)
	v_mul_f64 v[56:57], v[34:35], v[18:19]
	v_mul_f64 v[18:19], v[32:33], v[18:19]
	s_waitcnt vmcnt(1) lgkmcnt(3)
	v_mul_f64 v[58:59], v[38:39], v[22:23]
	v_mul_f64 v[22:23], v[36:37], v[22:23]
	s_waitcnt vmcnt(0) lgkmcnt(2)
	v_mul_f64 v[60:61], v[42:43], v[26:27]
	v_mul_f64 v[26:27], v[40:41], v[26:27]
	v_fma_f64 v[5:6], v[28:29], v[12:13], -v[5:6]
	v_fma_f64 v[28:29], v[30:31], v[12:13], v[14:15]
	v_fma_f64 v[30:31], v[32:33], v[16:17], -v[56:57]
	v_fma_f64 v[32:33], v[34:35], v[16:17], v[18:19]
	;; [unrolled: 2-line block ×3, first 2 shown]
	v_fma_f64 v[38:39], v[40:41], v[24:25], -v[60:61]
	ds_read_b128 v[12:15], v68 offset:6656
	ds_read_b128 v[16:19], v68 offset:9984
	v_fma_f64 v[40:41], v[42:43], v[24:25], v[26:27]
	v_mul_lo_u16 v56, v70, 26
	v_mul_lo_u16 v57, v71, 26
	s_waitcnt lgkmcnt(0)
	s_barrier
	buffer_gl0_inv
	v_add_f64 v[20:21], v[44:45], -v[5:6]
	v_add_f64 v[22:23], v[46:47], -v[28:29]
	;; [unrolled: 1-line block ×4, first 2 shown]
	v_mov_b32_e32 v5, 0x1a0
	v_add_f64 v[28:29], v[12:13], -v[34:35]
	v_add_f64 v[30:31], v[14:15], -v[36:37]
	;; [unrolled: 1-line block ×3, first 2 shown]
	v_mul_u32_u24_e32 v6, 0x1a0, v10
	v_add_f64 v[34:35], v[18:19], -v[40:41]
	v_mul_lo_u16 v10, v67, 26
	v_mul_u32_u24_sdwa v5, v7, v5 dst_sel:DWORD dst_unused:UNUSED_PAD src0_sel:WORD_0 src1_sel:DWORD
	v_mul_u32_u24_e32 v7, 0x1a0, v53
	v_mul_lo_u16 v53, v69, 26
	v_add3_u32 v6, 0, v6, v64
	v_sub_nc_u16 v10, v52, v10
	v_add3_u32 v5, 0, v5, v63
	v_add3_u32 v7, 0, v7, v65
	v_lshlrev_b32_sdwa v10, v0, v10 dst_sel:DWORD dst_unused:UNUSED_PAD src0_sel:DWORD src1_sel:BYTE_0
	v_fma_f64 v[36:37], v[44:45], 2.0, -v[20:21]
	v_fma_f64 v[38:39], v[46:47], 2.0, -v[22:23]
	;; [unrolled: 1-line block ×4, first 2 shown]
	v_sub_nc_u16 v44, v9, v53
	v_fma_f64 v[12:13], v[12:13], 2.0, -v[28:29]
	v_fma_f64 v[14:15], v[14:15], 2.0, -v[30:31]
	;; [unrolled: 1-line block ×3, first 2 shown]
	v_sub_nc_u16 v45, v11, v56
	v_fma_f64 v[18:19], v[18:19], 2.0, -v[34:35]
	v_mul_u32_u24_e32 v46, 0x1a0, v62
	v_sub_nc_u16 v47, v8, v57
	v_lshlrev_b32_sdwa v53, v0, v44 dst_sel:DWORD dst_unused:UNUSED_PAD src0_sel:DWORD src1_sel:WORD_0
	v_lshlrev_b32_sdwa v62, v0, v45 dst_sel:DWORD dst_unused:UNUSED_PAD src0_sel:DWORD src1_sel:WORD_0
	v_add3_u32 v44, 0, v46, v66
	ds_write_b128 v5, v[20:23] offset:208
	ds_write_b128 v5, v[36:39]
	ds_write_b128 v6, v[40:43]
	ds_write_b128 v6, v[24:27] offset:208
	ds_write_b128 v7, v[12:15]
	ds_write_b128 v7, v[28:31] offset:208
	;; [unrolled: 2-line block ×3, first 2 shown]
	s_waitcnt lgkmcnt(0)
	s_barrier
	buffer_gl0_inv
	global_load_dwordx4 v[12:15], v10, s[8:9] offset:208
	v_lshlrev_b32_sdwa v7, v0, v47 dst_sel:DWORD dst_unused:UNUSED_PAD src0_sel:DWORD src1_sel:WORD_0
	s_clause 0x2
	global_load_dwordx4 v[16:19], v53, s[8:9] offset:208
	global_load_dwordx4 v[20:23], v62, s[8:9] offset:208
	;; [unrolled: 1-line block ×3, first 2 shown]
	ds_read_b128 v[28:31], v68 offset:13312
	ds_read_b128 v[32:35], v68 offset:16640
	;; [unrolled: 1-line block ×4, first 2 shown]
	ds_read_b128 v[44:47], v68
	ds_read_b128 v[48:51], v68 offset:3328
	s_waitcnt vmcnt(3) lgkmcnt(5)
	v_mul_f64 v[5:6], v[30:31], v[14:15]
	v_mul_f64 v[14:15], v[28:29], v[14:15]
	s_waitcnt vmcnt(2) lgkmcnt(4)
	v_mul_f64 v[56:57], v[34:35], v[18:19]
	v_mul_f64 v[18:19], v[32:33], v[18:19]
	s_waitcnt vmcnt(1) lgkmcnt(3)
	v_mul_f64 v[58:59], v[38:39], v[22:23]
	v_mul_f64 v[22:23], v[36:37], v[22:23]
	s_waitcnt vmcnt(0) lgkmcnt(2)
	v_mul_f64 v[60:61], v[42:43], v[26:27]
	v_mul_f64 v[26:27], v[40:41], v[26:27]
	v_fma_f64 v[5:6], v[28:29], v[12:13], -v[5:6]
	v_fma_f64 v[28:29], v[30:31], v[12:13], v[14:15]
	v_fma_f64 v[30:31], v[32:33], v[16:17], -v[56:57]
	v_fma_f64 v[32:33], v[34:35], v[16:17], v[18:19]
	;; [unrolled: 2-line block ×3, first 2 shown]
	v_fma_f64 v[38:39], v[40:41], v[24:25], -v[60:61]
	ds_read_b128 v[12:15], v68 offset:6656
	ds_read_b128 v[16:19], v68 offset:9984
	v_fma_f64 v[40:41], v[42:43], v[24:25], v[26:27]
	v_mul_lo_u16 v42, v81, 52
	v_mul_lo_u16 v43, v82, 52
	s_waitcnt lgkmcnt(0)
	s_barrier
	buffer_gl0_inv
	v_sub_nc_u16 v83, v52, v42
	v_sub_nc_u16 v84, v9, v43
	v_mul_u32_u24_e32 v42, 0x340, v69
	v_mul_u32_u24_e32 v43, 0x340, v70
	v_add_f64 v[20:21], v[44:45], -v[5:6]
	v_add_f64 v[22:23], v[46:47], -v[28:29]
	;; [unrolled: 1-line block ×4, first 2 shown]
	v_mov_b32_e32 v5, 0x340
	v_add_f64 v[28:29], v[12:13], -v[34:35]
	v_add_f64 v[30:31], v[14:15], -v[36:37]
	;; [unrolled: 1-line block ×4, first 2 shown]
	v_mul_u32_u24_sdwa v41, v67, v5 dst_sel:DWORD dst_unused:UNUSED_PAD src0_sel:WORD_0 src1_sel:DWORD
	v_mov_b32_e32 v40, 3
	v_add3_u32 v10, 0, v41, v10
	v_add3_u32 v41, 0, v42, v53
	;; [unrolled: 1-line block ×3, first 2 shown]
	v_mov_b32_e32 v53, 0
	v_fma_f64 v[3:4], v[44:45], 2.0, -v[20:21]
	v_fma_f64 v[5:6], v[46:47], 2.0, -v[22:23]
	;; [unrolled: 1-line block ×4, first 2 shown]
	v_mul_u32_u24_sdwa v45, v83, v40 dst_sel:DWORD dst_unused:UNUSED_PAD src0_sel:BYTE_0 src1_sel:DWORD
	v_fma_f64 v[12:13], v[12:13], 2.0, -v[28:29]
	v_fma_f64 v[14:15], v[14:15], 2.0, -v[30:31]
	;; [unrolled: 1-line block ×3, first 2 shown]
	v_mul_u32_u24_e32 v44, 0x340, v71
	v_fma_f64 v[18:19], v[18:19], 2.0, -v[34:35]
	v_mul_u32_u24_sdwa v40, v84, v40 dst_sel:DWORD dst_unused:UNUSED_PAD src0_sel:WORD_0 src1_sel:DWORD
	v_lshlrev_b32_e32 v43, 4, v45
	v_add3_u32 v7, 0, v44, v7
	ds_write_b128 v10, v[20:23] offset:416
	ds_write_b128 v10, v[3:6]
	ds_write_b128 v41, v[36:39]
	ds_write_b128 v41, v[24:27] offset:416
	ds_write_b128 v42, v[12:15]
	ds_write_b128 v42, v[28:31] offset:416
	;; [unrolled: 2-line block ×3, first 2 shown]
	v_lshlrev_b32_e32 v7, 4, v40
	s_waitcnt lgkmcnt(0)
	s_barrier
	buffer_gl0_inv
	s_clause 0x5
	global_load_dwordx4 v[3:6], v43, s[8:9] offset:624
	global_load_dwordx4 v[12:15], v43, s[8:9] offset:640
	;; [unrolled: 1-line block ×6, first 2 shown]
	ds_read_b128 v[32:35], v68 offset:6656
	ds_read_b128 v[36:39], v68 offset:13312
	;; [unrolled: 1-line block ×6, first 2 shown]
	ds_read_b128 v[60:63], v68
	ds_read_b128 v[64:67], v68 offset:3328
	v_mov_b32_e32 v7, 0xd00
	v_mul_lo_u16 v10, 0xd0, v2
	s_waitcnt vmcnt(0) lgkmcnt(0)
	s_barrier
	buffer_gl0_inv
	v_mul_u32_u24_sdwa v7, v81, v7 dst_sel:DWORD dst_unused:UNUSED_PAD src0_sel:WORD_0 src1_sel:DWORD
	v_sub_nc_u16 v10, v11, v10
	v_lshlrev_b32_sdwa v10, v0, v10 dst_sel:DWORD dst_unused:UNUSED_PAD src0_sel:DWORD src1_sel:WORD_0
	v_mul_f64 v[71:72], v[38:39], v[14:15]
	v_mul_f64 v[14:15], v[36:37], v[14:15]
	;; [unrolled: 1-line block ×12, first 2 shown]
	v_fma_f64 v[32:33], v[32:33], v[3:4], -v[69:70]
	v_fma_f64 v[3:4], v[34:35], v[3:4], v[5:6]
	v_fma_f64 v[5:6], v[36:37], v[12:13], -v[71:72]
	v_fma_f64 v[12:13], v[38:39], v[12:13], v[14:15]
	;; [unrolled: 2-line block ×6, first 2 shown]
	v_mul_u32_u24_e32 v51, 0xd00, v82
	v_add_f64 v[30:31], v[60:61], -v[5:6]
	v_add_f64 v[34:35], v[62:63], -v[12:13]
	;; [unrolled: 1-line block ×4, first 2 shown]
	v_lshlrev_b64 v[13:14], 4, v[52:53]
	v_mul_lo_u16 v12, 0xd0, v1
	v_add_f64 v[36:37], v[64:65], -v[22:23]
	v_add_f64 v[43:44], v[66:67], -v[24:25]
	;; [unrolled: 1-line block ×4, first 2 shown]
	v_add_co_u32 v1, s0, s8, v13
	v_sub_nc_u16 v12, v8, v12
	v_add_co_ci_u32_e64 v2, s0, s9, v14, s0
	v_lshlrev_b32_sdwa v53, v0, v84 dst_sel:DWORD dst_unused:UNUSED_PAD src0_sel:DWORD src1_sel:WORD_0
	v_fma_f64 v[38:39], v[60:61], 2.0, -v[30:31]
	v_fma_f64 v[40:41], v[62:63], 2.0, -v[34:35]
	;; [unrolled: 1-line block ×4, first 2 shown]
	v_add_f64 v[3:4], v[30:31], -v[15:16]
	v_add_f64 v[5:6], v[34:35], v[5:6]
	v_fma_f64 v[45:46], v[64:65], 2.0, -v[36:37]
	v_fma_f64 v[47:48], v[66:67], 2.0, -v[43:44]
	;; [unrolled: 1-line block ×4, first 2 shown]
	v_add_f64 v[15:16], v[36:37], -v[24:25]
	v_add_f64 v[17:18], v[43:44], v[22:23]
	v_add_f64 v[19:20], v[38:39], -v[26:27]
	v_add_f64 v[21:22], v[40:41], -v[28:29]
	v_lshlrev_b32_sdwa v27, v0, v83 dst_sel:DWORD dst_unused:UNUSED_PAD src0_sel:DWORD src1_sel:BYTE_0
	v_lshlrev_b32_sdwa v0, v0, v12 dst_sel:DWORD dst_unused:UNUSED_PAD src0_sel:DWORD src1_sel:WORD_0
	v_add3_u32 v12, 0, v51, v53
	v_add_f64 v[23:24], v[45:46], -v[32:33]
	v_add_f64 v[25:26], v[47:48], -v[49:50]
	v_add3_u32 v7, 0, v7, v27
	v_fma_f64 v[27:28], v[30:31], 2.0, -v[3:4]
	v_fma_f64 v[29:30], v[34:35], 2.0, -v[5:6]
	;; [unrolled: 1-line block ×4, first 2 shown]
	v_add_co_u32 v49, s0, 0x800, v1
	v_add_co_ci_u32_e64 v50, s0, 0, v2, s0
	v_add_co_u32 v43, s0, s8, v10
	v_add_co_ci_u32_e64 v44, null, s9, 0, s0
	v_fma_f64 v[35:36], v[38:39], 2.0, -v[19:20]
	v_fma_f64 v[37:38], v[40:41], 2.0, -v[21:22]
	;; [unrolled: 1-line block ×4, first 2 shown]
	v_add_co_u32 v45, s0, s8, v0
	v_add_co_ci_u32_e64 v46, null, s9, 0, s0
	v_add_co_u32 v43, s0, 0x800, v43
	v_add_co_ci_u32_e64 v44, s0, 0, v44, s0
	ds_write_b128 v7, v[3:6] offset:2496
	ds_write_b128 v7, v[27:30] offset:832
	;; [unrolled: 1-line block ×3, first 2 shown]
	ds_write_b128 v7, v[35:38]
	ds_write_b128 v12, v[39:42]
	ds_write_b128 v12, v[31:34] offset:832
	ds_write_b128 v12, v[23:26] offset:1664
	;; [unrolled: 1-line block ×3, first 2 shown]
	v_add_co_u32 v19, s0, 0x800, v45
	v_add_co_ci_u32_e64 v20, s0, 0, v46, s0
	s_waitcnt lgkmcnt(0)
	s_barrier
	buffer_gl0_inv
	s_clause 0x2
	global_load_dwordx4 v[3:6], v[49:50], off offset:1072
	global_load_dwordx4 v[15:18], v[43:44], off offset:1072
	;; [unrolled: 1-line block ×3, first 2 shown]
	ds_read_b128 v[23:26], v68 offset:13312
	ds_read_b128 v[27:30], v68 offset:16640
	ds_read_b128 v[31:34], v68 offset:19968
	ds_read_b128 v[35:38], v68 offset:23296
	ds_read_b128 v[39:42], v68
	ds_read_b128 v[43:46], v68 offset:3328
	v_add_nc_u32_e32 v7, 0, v10
	v_add_nc_u32_e32 v0, 0, v0
	s_waitcnt vmcnt(2) lgkmcnt(5)
	v_mul_f64 v[47:48], v[25:26], v[5:6]
	v_mul_f64 v[49:50], v[23:24], v[5:6]
	s_waitcnt lgkmcnt(4)
	v_mul_f64 v[56:57], v[29:30], v[5:6]
	v_mul_f64 v[5:6], v[27:28], v[5:6]
	s_waitcnt vmcnt(1) lgkmcnt(3)
	v_mul_f64 v[58:59], v[33:34], v[17:18]
	v_mul_f64 v[17:18], v[31:32], v[17:18]
	s_waitcnt vmcnt(0) lgkmcnt(2)
	v_mul_f64 v[60:61], v[37:38], v[21:22]
	v_mul_f64 v[21:22], v[35:36], v[21:22]
	v_fma_f64 v[23:24], v[23:24], v[3:4], -v[47:48]
	v_fma_f64 v[25:26], v[25:26], v[3:4], v[49:50]
	v_fma_f64 v[27:28], v[27:28], v[3:4], -v[56:57]
	v_fma_f64 v[29:30], v[29:30], v[3:4], v[5:6]
	;; [unrolled: 2-line block ×4, first 2 shown]
	ds_read_b128 v[3:6], v68 offset:6656
	ds_read_b128 v[15:18], v68 offset:9984
	s_waitcnt lgkmcnt(0)
	s_barrier
	buffer_gl0_inv
	v_add_f64 v[19:20], v[39:40], -v[23:24]
	v_add_f64 v[21:22], v[41:42], -v[25:26]
	;; [unrolled: 1-line block ×8, first 2 shown]
	v_fma_f64 v[35:36], v[39:40], 2.0, -v[19:20]
	v_fma_f64 v[37:38], v[41:42], 2.0, -v[21:22]
	;; [unrolled: 1-line block ×4, first 2 shown]
	v_add_co_u32 v43, s0, 0x1800, v1
	v_fma_f64 v[3:4], v[3:4], 2.0, -v[27:28]
	v_fma_f64 v[5:6], v[5:6], 2.0, -v[29:30]
	;; [unrolled: 1-line block ×4, first 2 shown]
	v_add_co_ci_u32_e64 v44, s0, 0, v2, s0
	v_add_co_u32 v45, s0, 0x2000, v1
	v_add_co_ci_u32_e64 v46, s0, 0, v2, s0
	ds_write_b128 v68, v[19:22] offset:3328
	ds_write_b128 v68, v[23:26] offset:9984
	ds_write_b128 v7, v[27:30] offset:16640
	ds_write_b128 v0, v[31:34] offset:23296
	ds_write_b128 v68, v[35:38]
	ds_write_b128 v68, v[39:42] offset:6656
	ds_write_b128 v7, v[3:6] offset:13312
	;; [unrolled: 1-line block ×3, first 2 shown]
	s_waitcnt lgkmcnt(0)
	s_barrier
	buffer_gl0_inv
	s_clause 0x1
	global_load_dwordx4 v[3:6], v[43:44], off offset:304
	global_load_dwordx4 v[15:18], v[45:46], off offset:1584
	ds_read_b128 v[19:22], v68 offset:13312
	ds_read_b128 v[23:26], v68 offset:16640
	;; [unrolled: 1-line block ×4, first 2 shown]
	ds_read_b128 v[35:38], v68
	ds_read_b128 v[39:42], v68 offset:3328
	s_waitcnt vmcnt(1) lgkmcnt(5)
	v_mul_f64 v[43:44], v[21:22], v[5:6]
	v_mul_f64 v[45:46], v[19:20], v[5:6]
	s_waitcnt vmcnt(0) lgkmcnt(4)
	v_mul_f64 v[47:48], v[25:26], v[17:18]
	v_mul_f64 v[49:50], v[23:24], v[17:18]
	s_waitcnt lgkmcnt(3)
	v_mul_f64 v[56:57], v[29:30], v[5:6]
	v_mul_f64 v[5:6], v[27:28], v[5:6]
	s_waitcnt lgkmcnt(2)
	v_mul_f64 v[58:59], v[33:34], v[17:18]
	v_mul_f64 v[17:18], v[31:32], v[17:18]
	v_fma_f64 v[19:20], v[19:20], v[3:4], -v[43:44]
	v_fma_f64 v[21:22], v[21:22], v[3:4], v[45:46]
	v_fma_f64 v[23:24], v[23:24], v[15:16], -v[47:48]
	v_fma_f64 v[25:26], v[25:26], v[15:16], v[49:50]
	;; [unrolled: 2-line block ×4, first 2 shown]
	ds_read_b128 v[3:6], v68 offset:6656
	ds_read_b128 v[15:18], v68 offset:9984
	v_add_co_u32 v43, s0, 0x3000, v1
	v_add_co_ci_u32_e64 v44, s0, 0, v2, s0
	v_add_co_u32 v45, s0, 0x4000, v1
	v_add_co_ci_u32_e64 v46, s0, 0, v2, s0
	;; [unrolled: 2-line block ×3, first 2 shown]
	s_waitcnt lgkmcnt(3)
	v_add_f64 v[19:20], v[35:36], -v[19:20]
	v_add_f64 v[21:22], v[37:38], -v[21:22]
	s_waitcnt lgkmcnt(2)
	v_add_f64 v[23:24], v[39:40], -v[23:24]
	v_add_f64 v[25:26], v[41:42], -v[25:26]
	v_add_co_u32 v0, s0, 0x5800, v1
	s_waitcnt lgkmcnt(1)
	v_add_f64 v[27:28], v[3:4], -v[27:28]
	v_add_f64 v[29:30], v[5:6], -v[29:30]
	s_waitcnt lgkmcnt(0)
	v_add_f64 v[31:32], v[15:16], -v[31:32]
	v_add_f64 v[33:34], v[17:18], -v[33:34]
	s_barrier
	buffer_gl0_inv
	v_add_co_ci_u32_e64 v1, s0, 0, v2, s0
	v_fma_f64 v[35:36], v[35:36], 2.0, -v[19:20]
	v_fma_f64 v[37:38], v[37:38], 2.0, -v[21:22]
	;; [unrolled: 1-line block ×8, first 2 shown]
	ds_write_b128 v68, v[19:22] offset:6656
	ds_write_b128 v68, v[23:26] offset:9984
	;; [unrolled: 1-line block ×4, first 2 shown]
	ds_write_b128 v68, v[35:38]
	ds_write_b128 v68, v[39:42] offset:3328
	ds_write_b128 v68, v[3:6] offset:13312
	ds_write_b128 v68, v[15:18] offset:16640
	s_waitcnt lgkmcnt(0)
	s_barrier
	buffer_gl0_inv
	s_clause 0x3
	global_load_dwordx4 v[3:6], v[43:44], off offset:816
	global_load_dwordx4 v[15:18], v[45:46], off offset:48
	;; [unrolled: 1-line block ×4, first 2 shown]
	ds_read_b128 v[27:30], v68 offset:13312
	ds_read_b128 v[31:34], v68 offset:16640
	;; [unrolled: 1-line block ×4, first 2 shown]
	ds_read_b128 v[43:46], v68
	ds_read_b128 v[47:50], v68 offset:3328
	s_waitcnt vmcnt(2) lgkmcnt(4)
	v_mul_f64 v[56:57], v[33:34], v[17:18]
	v_mul_f64 v[0:1], v[29:30], v[5:6]
	;; [unrolled: 1-line block ×4, first 2 shown]
	s_waitcnt vmcnt(1) lgkmcnt(3)
	v_mul_f64 v[58:59], v[37:38], v[21:22]
	v_mul_f64 v[21:22], v[35:36], v[21:22]
	s_waitcnt vmcnt(0) lgkmcnt(2)
	v_mul_f64 v[60:61], v[41:42], v[25:26]
	v_mul_f64 v[25:26], v[39:40], v[25:26]
	v_fma_f64 v[31:32], v[31:32], v[15:16], -v[56:57]
	v_fma_f64 v[27:28], v[27:28], v[3:4], -v[0:1]
	v_fma_f64 v[29:30], v[29:30], v[3:4], v[5:6]
	v_fma_f64 v[33:34], v[33:34], v[15:16], v[17:18]
	v_fma_f64 v[35:36], v[35:36], v[19:20], -v[58:59]
	v_fma_f64 v[37:38], v[37:38], v[19:20], v[21:22]
	v_fma_f64 v[39:40], v[39:40], v[23:24], -v[60:61]
	v_fma_f64 v[41:42], v[41:42], v[23:24], v[25:26]
	ds_read_b128 v[0:3], v68 offset:6656
	ds_read_b128 v[4:7], v68 offset:9984
	s_waitcnt lgkmcnt(0)
	s_barrier
	buffer_gl0_inv
	v_add_f64 v[19:20], v[47:48], -v[31:32]
	v_add_f64 v[15:16], v[43:44], -v[27:28]
	;; [unrolled: 1-line block ×8, first 2 shown]
	v_fma_f64 v[35:36], v[47:48], 2.0, -v[19:20]
	v_fma_f64 v[31:32], v[43:44], 2.0, -v[15:16]
	;; [unrolled: 1-line block ×8, first 2 shown]
	ds_write_b128 v68, v[15:18] offset:13312
	ds_write_b128 v68, v[19:22] offset:16640
	;; [unrolled: 1-line block ×4, first 2 shown]
	ds_write_b128 v68, v[31:34]
	ds_write_b128 v68, v[35:38] offset:3328
	ds_write_b128 v68, v[0:3] offset:6656
	;; [unrolled: 1-line block ×3, first 2 shown]
	s_waitcnt lgkmcnt(0)
	s_barrier
	buffer_gl0_inv
	ds_read_b128 v[4:7], v68
	v_lshlrev_b32_e32 v0, 4, v52
                                        ; implicit-def: $vgpr15_vgpr16
                                        ; implicit-def: $vgpr17_vgpr18
	v_sub_nc_u32_e32 v19, 0, v0
                                        ; implicit-def: $vgpr0_vgpr1
	v_cmpx_ne_u32_e32 0, v52
	s_xor_b32 s5, exec_lo, s5
	s_cbranch_execz .LBB0_15
; %bb.14:
	v_add_co_u32 v0, s0, s1, v13
	v_add_co_ci_u32_e64 v1, s0, s4, v14, s0
	global_load_dwordx4 v[20:23], v[0:1], off
	ds_read_b128 v[0:3], v19 offset:26624
	s_waitcnt lgkmcnt(0)
	v_add_f64 v[15:16], v[4:5], -v[0:1]
	v_add_f64 v[17:18], v[6:7], v[2:3]
	v_add_f64 v[2:3], v[6:7], -v[2:3]
	v_add_f64 v[0:1], v[4:5], v[0:1]
	v_mul_f64 v[6:7], v[15:16], 0.5
	v_mul_f64 v[4:5], v[17:18], 0.5
	;; [unrolled: 1-line block ×3, first 2 shown]
	s_waitcnt vmcnt(0)
	v_mul_f64 v[15:16], v[6:7], v[22:23]
	v_fma_f64 v[17:18], v[4:5], v[22:23], v[2:3]
	v_fma_f64 v[2:3], v[4:5], v[22:23], -v[2:3]
	v_fma_f64 v[24:25], v[0:1], 0.5, v[15:16]
	v_fma_f64 v[0:1], v[0:1], 0.5, -v[15:16]
	v_fma_f64 v[17:18], -v[20:21], v[6:7], v[17:18]
	v_fma_f64 v[2:3], -v[20:21], v[6:7], v[2:3]
	v_fma_f64 v[15:16], v[4:5], v[20:21], v[24:25]
	v_fma_f64 v[0:1], -v[4:5], v[20:21], v[0:1]
                                        ; implicit-def: $vgpr4_vgpr5
.LBB0_15:
	s_andn2_saveexec_b32 s0, s5
	s_cbranch_execz .LBB0_17
; %bb.16:
	v_mov_b32_e32 v10, 0
	s_waitcnt lgkmcnt(0)
	v_add_f64 v[15:16], v[4:5], v[6:7]
	v_add_f64 v[0:1], v[4:5], -v[6:7]
	v_mov_b32_e32 v17, 0
	v_mov_b32_e32 v18, 0
	ds_read_b64 v[20:21], v10 offset:13320
	v_mov_b32_e32 v2, v17
	v_mov_b32_e32 v3, v18
	s_waitcnt lgkmcnt(0)
	v_xor_b32_e32 v21, 0x80000000, v21
	ds_write_b64 v10, v[20:21] offset:13320
.LBB0_17:
	s_or_b32 exec_lo, exec_lo, s0
	v_mov_b32_e32 v10, 0
	ds_write2_b64 v68, v[15:16], v[17:18] offset1:1
	ds_write_b128 v19, v[0:3] offset:26624
	s_waitcnt lgkmcnt(2)
	v_lshlrev_b64 v[4:5], 4, v[9:10]
	v_mov_b32_e32 v12, v10
	v_mov_b32_e32 v9, v10
	v_lshlrev_b64 v[11:12], 4, v[11:12]
	v_add_co_u32 v4, s0, s1, v4
	v_add_co_ci_u32_e64 v5, s0, s4, v5, s0
	v_lshlrev_b64 v[15:16], 4, v[8:9]
	v_add_co_u32 v11, s0, s1, v11
	global_load_dwordx4 v[4:7], v[4:5], off
	v_add_co_ci_u32_e64 v12, s0, s4, v12, s0
	v_add_co_u32 v15, s0, s1, v15
	v_add_co_ci_u32_e64 v16, s0, s4, v16, s0
	global_load_dwordx4 v[20:23], v[11:12], off
	ds_read_b128 v[0:3], v68 offset:3328
	ds_read_b128 v[8:11], v19 offset:23296
	global_load_dwordx4 v[15:18], v[15:16], off
	s_waitcnt lgkmcnt(0)
	v_add_f64 v[24:25], v[0:1], -v[8:9]
	v_add_f64 v[26:27], v[2:3], v[10:11]
	v_add_f64 v[2:3], v[2:3], -v[10:11]
	v_add_f64 v[0:1], v[0:1], v[8:9]
	v_mul_f64 v[10:11], v[24:25], 0.5
	v_mul_f64 v[24:25], v[26:27], 0.5
	;; [unrolled: 1-line block ×3, first 2 shown]
	s_waitcnt vmcnt(2)
	v_mul_f64 v[8:9], v[10:11], v[6:7]
	v_fma_f64 v[26:27], v[24:25], v[6:7], v[2:3]
	v_fma_f64 v[2:3], v[24:25], v[6:7], -v[2:3]
	v_fma_f64 v[6:7], v[0:1], 0.5, v[8:9]
	v_fma_f64 v[0:1], v[0:1], 0.5, -v[8:9]
	v_fma_f64 v[8:9], -v[4:5], v[10:11], v[26:27]
	v_fma_f64 v[2:3], -v[4:5], v[10:11], v[2:3]
	v_fma_f64 v[6:7], v[24:25], v[4:5], v[6:7]
	v_fma_f64 v[0:1], -v[24:25], v[4:5], v[0:1]
	v_add_nc_u32_e32 v4, 0x800, v68
	ds_write2_b64 v4, v[6:7], v[8:9] offset0:160 offset1:161
	ds_write_b128 v19, v[0:3] offset:23296
	ds_read_b128 v[0:3], v68 offset:6656
	ds_read_b128 v[4:7], v19 offset:19968
	s_waitcnt lgkmcnt(0)
	v_add_f64 v[8:9], v[0:1], -v[4:5]
	v_add_f64 v[10:11], v[2:3], v[6:7]
	v_add_f64 v[2:3], v[2:3], -v[6:7]
	v_add_f64 v[0:1], v[0:1], v[4:5]
	v_mul_f64 v[6:7], v[8:9], 0.5
	v_mul_f64 v[8:9], v[10:11], 0.5
	;; [unrolled: 1-line block ×3, first 2 shown]
	s_waitcnt vmcnt(1)
	v_mul_f64 v[4:5], v[6:7], v[22:23]
	v_fma_f64 v[10:11], v[8:9], v[22:23], v[2:3]
	v_fma_f64 v[2:3], v[8:9], v[22:23], -v[2:3]
	v_fma_f64 v[22:23], v[0:1], 0.5, v[4:5]
	v_fma_f64 v[0:1], v[0:1], 0.5, -v[4:5]
	v_fma_f64 v[4:5], -v[20:21], v[6:7], v[10:11]
	v_fma_f64 v[2:3], -v[20:21], v[6:7], v[2:3]
	v_fma_f64 v[6:7], v[8:9], v[20:21], v[22:23]
	v_fma_f64 v[0:1], -v[8:9], v[20:21], v[0:1]
	v_add_nc_u32_e32 v8, 0x1800, v68
	ds_write2_b64 v8, v[6:7], v[4:5] offset0:64 offset1:65
	ds_write_b128 v19, v[0:3] offset:19968
	ds_read_b128 v[0:3], v68 offset:9984
	ds_read_b128 v[4:7], v19 offset:16640
	s_waitcnt lgkmcnt(0)
	v_add_f64 v[8:9], v[0:1], -v[4:5]
	v_add_f64 v[10:11], v[2:3], v[6:7]
	v_add_f64 v[2:3], v[2:3], -v[6:7]
	v_add_f64 v[0:1], v[0:1], v[4:5]
	v_mul_f64 v[6:7], v[8:9], 0.5
	v_mul_f64 v[8:9], v[10:11], 0.5
	;; [unrolled: 1-line block ×3, first 2 shown]
	s_waitcnt vmcnt(0)
	v_mul_f64 v[4:5], v[6:7], v[17:18]
	v_fma_f64 v[10:11], v[8:9], v[17:18], v[2:3]
	v_fma_f64 v[2:3], v[8:9], v[17:18], -v[2:3]
	v_fma_f64 v[17:18], v[0:1], 0.5, v[4:5]
	v_fma_f64 v[0:1], v[0:1], 0.5, -v[4:5]
	v_fma_f64 v[4:5], -v[15:16], v[6:7], v[10:11]
	v_fma_f64 v[2:3], -v[15:16], v[6:7], v[2:3]
	v_fma_f64 v[6:7], v[8:9], v[15:16], v[17:18]
	v_fma_f64 v[0:1], -v[8:9], v[15:16], v[0:1]
	v_add_nc_u32_e32 v8, 0x2000, v68
	ds_write2_b64 v8, v[6:7], v[4:5] offset0:224 offset1:225
	ds_write_b128 v19, v[0:3] offset:16640
	s_waitcnt lgkmcnt(0)
	s_barrier
	buffer_gl0_inv
	s_and_saveexec_b32 s0, vcc_lo
	s_cbranch_execz .LBB0_20
; %bb.18:
	v_add_co_u32 v0, vcc_lo, s2, v54
	ds_read_b128 v[2:5], v68
	ds_read_b128 v[6:9], v68 offset:3328
	ds_read_b128 v[15:18], v68 offset:6656
	;; [unrolled: 1-line block ×3, first 2 shown]
	v_add_co_ci_u32_e32 v1, vcc_lo, s3, v55, vcc_lo
	v_add_co_u32 v23, vcc_lo, v0, v13
	v_add_co_ci_u32_e32 v24, vcc_lo, v1, v14, vcc_lo
	v_add_co_u32 v10, vcc_lo, 0x800, v23
	;; [unrolled: 2-line block ×4, first 2 shown]
	v_add_co_ci_u32_e32 v26, vcc_lo, 0, v24, vcc_lo
	s_waitcnt lgkmcnt(3)
	global_store_dwordx4 v[23:24], v[2:5], off
	s_waitcnt lgkmcnt(2)
	global_store_dwordx4 v[10:11], v[6:9], off offset:1280
	s_waitcnt lgkmcnt(1)
	global_store_dwordx4 v[12:13], v[15:18], off offset:512
	;; [unrolled: 2-line block ×3, first 2 shown]
	ds_read_b128 v[2:5], v68 offset:13312
	ds_read_b128 v[6:9], v68 offset:16640
	;; [unrolled: 1-line block ×4, first 2 shown]
	v_add_co_u32 v18, vcc_lo, 0x3000, v23
	v_add_co_ci_u32_e32 v19, vcc_lo, 0, v24, vcc_lo
	v_add_co_u32 v20, vcc_lo, 0x4000, v23
	v_add_co_ci_u32_e32 v21, vcc_lo, 0, v24, vcc_lo
	;; [unrolled: 2-line block ×4, first 2 shown]
	v_cmp_eq_u32_e32 vcc_lo, 0xcf, v52
	s_waitcnt lgkmcnt(3)
	global_store_dwordx4 v[18:19], v[2:5], off offset:1024
	s_waitcnt lgkmcnt(2)
	global_store_dwordx4 v[20:21], v[6:9], off offset:256
	;; [unrolled: 2-line block ×4, first 2 shown]
	s_and_b32 exec_lo, exec_lo, vcc_lo
	s_cbranch_execz .LBB0_20
; %bb.19:
	v_mov_b32_e32 v2, 0
	v_add_co_u32 v0, vcc_lo, 0x6800, v0
	v_add_co_ci_u32_e32 v1, vcc_lo, 0, v1, vcc_lo
	ds_read_b128 v[2:5], v2 offset:26624
	s_waitcnt lgkmcnt(0)
	global_store_dwordx4 v[0:1], v[2:5], off
.LBB0_20:
	s_endpgm
	.section	.rodata,"a",@progbits
	.p2align	6, 0x0
	.amdhsa_kernel fft_rtc_fwd_len1664_factors_13_2_2_4_2_2_2_wgs_208_tpt_208_halfLds_dp_ip_CI_unitstride_sbrr_R2C_dirReg
		.amdhsa_group_segment_fixed_size 0
		.amdhsa_private_segment_fixed_size 0
		.amdhsa_kernarg_size 88
		.amdhsa_user_sgpr_count 6
		.amdhsa_user_sgpr_private_segment_buffer 1
		.amdhsa_user_sgpr_dispatch_ptr 0
		.amdhsa_user_sgpr_queue_ptr 0
		.amdhsa_user_sgpr_kernarg_segment_ptr 1
		.amdhsa_user_sgpr_dispatch_id 0
		.amdhsa_user_sgpr_flat_scratch_init 0
		.amdhsa_user_sgpr_private_segment_size 0
		.amdhsa_wavefront_size32 1
		.amdhsa_uses_dynamic_stack 0
		.amdhsa_system_sgpr_private_segment_wavefront_offset 0
		.amdhsa_system_sgpr_workgroup_id_x 1
		.amdhsa_system_sgpr_workgroup_id_y 0
		.amdhsa_system_sgpr_workgroup_id_z 0
		.amdhsa_system_sgpr_workgroup_info 0
		.amdhsa_system_vgpr_workitem_id 0
		.amdhsa_next_free_vgpr 129
		.amdhsa_next_free_sgpr 42
		.amdhsa_reserve_vcc 1
		.amdhsa_reserve_flat_scratch 0
		.amdhsa_float_round_mode_32 0
		.amdhsa_float_round_mode_16_64 0
		.amdhsa_float_denorm_mode_32 3
		.amdhsa_float_denorm_mode_16_64 3
		.amdhsa_dx10_clamp 1
		.amdhsa_ieee_mode 1
		.amdhsa_fp16_overflow 0
		.amdhsa_workgroup_processor_mode 1
		.amdhsa_memory_ordered 1
		.amdhsa_forward_progress 0
		.amdhsa_shared_vgpr_count 0
		.amdhsa_exception_fp_ieee_invalid_op 0
		.amdhsa_exception_fp_denorm_src 0
		.amdhsa_exception_fp_ieee_div_zero 0
		.amdhsa_exception_fp_ieee_overflow 0
		.amdhsa_exception_fp_ieee_underflow 0
		.amdhsa_exception_fp_ieee_inexact 0
		.amdhsa_exception_int_div_zero 0
	.end_amdhsa_kernel
	.text
.Lfunc_end0:
	.size	fft_rtc_fwd_len1664_factors_13_2_2_4_2_2_2_wgs_208_tpt_208_halfLds_dp_ip_CI_unitstride_sbrr_R2C_dirReg, .Lfunc_end0-fft_rtc_fwd_len1664_factors_13_2_2_4_2_2_2_wgs_208_tpt_208_halfLds_dp_ip_CI_unitstride_sbrr_R2C_dirReg
                                        ; -- End function
	.section	.AMDGPU.csdata,"",@progbits
; Kernel info:
; codeLenInByte = 10532
; NumSgprs: 44
; NumVgprs: 129
; ScratchSize: 0
; MemoryBound: 0
; FloatMode: 240
; IeeeMode: 1
; LDSByteSize: 0 bytes/workgroup (compile time only)
; SGPRBlocks: 5
; VGPRBlocks: 16
; NumSGPRsForWavesPerEU: 44
; NumVGPRsForWavesPerEU: 129
; Occupancy: 7
; WaveLimiterHint : 1
; COMPUTE_PGM_RSRC2:SCRATCH_EN: 0
; COMPUTE_PGM_RSRC2:USER_SGPR: 6
; COMPUTE_PGM_RSRC2:TRAP_HANDLER: 0
; COMPUTE_PGM_RSRC2:TGID_X_EN: 1
; COMPUTE_PGM_RSRC2:TGID_Y_EN: 0
; COMPUTE_PGM_RSRC2:TGID_Z_EN: 0
; COMPUTE_PGM_RSRC2:TIDIG_COMP_CNT: 0
	.text
	.p2alignl 6, 3214868480
	.fill 48, 4, 3214868480
	.type	__hip_cuid_a8e7f4c2017c1a98,@object ; @__hip_cuid_a8e7f4c2017c1a98
	.section	.bss,"aw",@nobits
	.globl	__hip_cuid_a8e7f4c2017c1a98
__hip_cuid_a8e7f4c2017c1a98:
	.byte	0                               ; 0x0
	.size	__hip_cuid_a8e7f4c2017c1a98, 1

	.ident	"AMD clang version 19.0.0git (https://github.com/RadeonOpenCompute/llvm-project roc-6.4.0 25133 c7fe45cf4b819c5991fe208aaa96edf142730f1d)"
	.section	".note.GNU-stack","",@progbits
	.addrsig
	.addrsig_sym __hip_cuid_a8e7f4c2017c1a98
	.amdgpu_metadata
---
amdhsa.kernels:
  - .args:
      - .actual_access:  read_only
        .address_space:  global
        .offset:         0
        .size:           8
        .value_kind:     global_buffer
      - .offset:         8
        .size:           8
        .value_kind:     by_value
      - .actual_access:  read_only
        .address_space:  global
        .offset:         16
        .size:           8
        .value_kind:     global_buffer
      - .actual_access:  read_only
        .address_space:  global
        .offset:         24
        .size:           8
        .value_kind:     global_buffer
      - .offset:         32
        .size:           8
        .value_kind:     by_value
      - .actual_access:  read_only
        .address_space:  global
        .offset:         40
        .size:           8
        .value_kind:     global_buffer
      - .actual_access:  read_only
        .address_space:  global
        .offset:         48
        .size:           8
        .value_kind:     global_buffer
      - .offset:         56
        .size:           4
        .value_kind:     by_value
      - .actual_access:  read_only
        .address_space:  global
        .offset:         64
        .size:           8
        .value_kind:     global_buffer
      - .actual_access:  read_only
        .address_space:  global
        .offset:         72
        .size:           8
        .value_kind:     global_buffer
      - .address_space:  global
        .offset:         80
        .size:           8
        .value_kind:     global_buffer
    .group_segment_fixed_size: 0
    .kernarg_segment_align: 8
    .kernarg_segment_size: 88
    .language:       OpenCL C
    .language_version:
      - 2
      - 0
    .max_flat_workgroup_size: 208
    .name:           fft_rtc_fwd_len1664_factors_13_2_2_4_2_2_2_wgs_208_tpt_208_halfLds_dp_ip_CI_unitstride_sbrr_R2C_dirReg
    .private_segment_fixed_size: 0
    .sgpr_count:     44
    .sgpr_spill_count: 0
    .symbol:         fft_rtc_fwd_len1664_factors_13_2_2_4_2_2_2_wgs_208_tpt_208_halfLds_dp_ip_CI_unitstride_sbrr_R2C_dirReg.kd
    .uniform_work_group_size: 1
    .uses_dynamic_stack: false
    .vgpr_count:     129
    .vgpr_spill_count: 0
    .wavefront_size: 32
    .workgroup_processor_mode: 1
amdhsa.target:   amdgcn-amd-amdhsa--gfx1030
amdhsa.version:
  - 1
  - 2
...

	.end_amdgpu_metadata
